;; amdgpu-corpus repo=ROCm/rocFFT kind=compiled arch=gfx1201 opt=O3
	.text
	.amdgcn_target "amdgcn-amd-amdhsa--gfx1201"
	.amdhsa_code_object_version 6
	.protected	bluestein_single_fwd_len960_dim1_sp_op_CI_CI ; -- Begin function bluestein_single_fwd_len960_dim1_sp_op_CI_CI
	.globl	bluestein_single_fwd_len960_dim1_sp_op_CI_CI
	.p2align	8
	.type	bluestein_single_fwd_len960_dim1_sp_op_CI_CI,@function
bluestein_single_fwd_len960_dim1_sp_op_CI_CI: ; @bluestein_single_fwd_len960_dim1_sp_op_CI_CI
; %bb.0:
	s_load_b128 s[8:11], s[0:1], 0x28
	v_mul_u32_u24_e32 v1, 0x19a, v0
	s_mov_b32 s2, exec_lo
	v_mov_b32_e32 v57, 0
	s_delay_alu instid0(VALU_DEP_2) | instskip(NEXT) | instid1(VALU_DEP_1)
	v_lshrrev_b32_e32 v1, 16, v1
	v_add_nc_u32_e32 v56, ttmp9, v1
	s_wait_kmcnt 0x0
	s_delay_alu instid0(VALU_DEP_1)
	v_cmpx_gt_u64_e64 s[8:9], v[56:57]
	s_cbranch_execz .LBB0_23
; %bb.1:
	s_clause 0x1
	s_load_b64 s[8:9], s[0:1], 0x0
	s_load_b64 s[12:13], s[0:1], 0x38
	v_mul_lo_u16 v1, 0xa0, v1
	s_delay_alu instid0(VALU_DEP_1) | instskip(NEXT) | instid1(VALU_DEP_1)
	v_sub_nc_u16 v0, v0, v1
	v_and_b32_e32 v62, 0xffff, v0
	v_cmp_gt_u16_e32 vcc_lo, 60, v0
	s_delay_alu instid0(VALU_DEP_2)
	v_lshlrev_b32_e32 v61, 3, v62
	s_and_saveexec_b32 s3, vcc_lo
	s_cbranch_execz .LBB0_3
; %bb.2:
	s_load_b64 s[4:5], s[0:1], 0x18
	s_delay_alu instid0(VALU_DEP_1)
	v_add_nc_u32_e32 v70, 0x800, v61
	v_add_nc_u32_e32 v72, 0x1000, v61
	s_wait_kmcnt 0x0
	s_load_b128 s[4:7], s[4:5], 0x0
	s_wait_kmcnt 0x0
	v_mad_co_u64_u32 v[0:1], null, s6, v56, 0
	v_mad_co_u64_u32 v[2:3], null, s4, v62, 0
	s_delay_alu instid0(VALU_DEP_1) | instskip(NEXT) | instid1(VALU_DEP_1)
	v_mad_co_u64_u32 v[4:5], null, s7, v56, v[1:2]
	v_mad_co_u64_u32 v[5:6], null, s5, v62, v[3:4]
	v_mov_b32_e32 v1, v4
	s_mul_u64 s[4:5], s[4:5], 0x1e0
	s_delay_alu instid0(VALU_DEP_1) | instskip(NEXT) | instid1(VALU_DEP_3)
	v_lshlrev_b64_e32 v[0:1], 3, v[0:1]
	v_mov_b32_e32 v3, v5
	s_clause 0x3
	global_load_b64 v[4:5], v61, s[8:9]
	global_load_b64 v[6:7], v61, s[8:9] offset:480
	global_load_b64 v[8:9], v61, s[8:9] offset:960
	;; [unrolled: 1-line block ×3, first 2 shown]
	v_add_co_u32 v18, s2, s10, v0
	v_lshlrev_b64_e32 v[2:3], 3, v[2:3]
	v_add_co_ci_u32_e64 v19, s2, s11, v1, s2
	s_clause 0x9
	global_load_b64 v[0:1], v61, s[8:9] offset:1920
	global_load_b64 v[12:13], v61, s[8:9] offset:2400
	;; [unrolled: 1-line block ×10, first 2 shown]
	v_add_co_u32 v2, s2, v18, v2
	s_wait_alu 0xf1ff
	v_add_co_ci_u32_e64 v3, s2, v19, v3, s2
	s_wait_alu 0xfffe
	s_delay_alu instid0(VALU_DEP_2) | instskip(SKIP_1) | instid1(VALU_DEP_2)
	v_add_co_u32 v18, s2, v2, s4
	s_wait_alu 0xf1ff
	v_add_co_ci_u32_e64 v19, s2, s5, v3, s2
	global_load_b64 v[2:3], v[2:3], off
	v_add_co_u32 v28, s2, v18, s4
	s_wait_alu 0xf1ff
	v_add_co_ci_u32_e64 v29, s2, s5, v19, s2
	s_delay_alu instid0(VALU_DEP_2) | instskip(SKIP_1) | instid1(VALU_DEP_2)
	v_add_co_u32 v34, s2, v28, s4
	s_wait_alu 0xf1ff
	v_add_co_ci_u32_e64 v35, s2, s5, v29, s2
	s_delay_alu instid0(VALU_DEP_2) | instskip(SKIP_1) | instid1(VALU_DEP_2)
	v_add_co_u32 v36, s2, v34, s4
	s_wait_alu 0xf1ff
	v_add_co_ci_u32_e64 v37, s2, s5, v35, s2
	s_clause 0x2
	global_load_b64 v[18:19], v[18:19], off
	global_load_b64 v[28:29], v[28:29], off
	;; [unrolled: 1-line block ×3, first 2 shown]
	v_add_co_u32 v38, s2, v36, s4
	s_wait_alu 0xf1ff
	v_add_co_ci_u32_e64 v39, s2, s5, v37, s2
	global_load_b64 v[36:37], v[36:37], off
	v_add_co_u32 v40, s2, v38, s4
	s_wait_alu 0xf1ff
	v_add_co_ci_u32_e64 v41, s2, s5, v39, s2
	global_load_b64 v[38:39], v[38:39], off
	v_add_co_u32 v42, s2, v40, s4
	s_wait_alu 0xf1ff
	v_add_co_ci_u32_e64 v43, s2, s5, v41, s2
	global_load_b64 v[40:41], v[40:41], off
	v_add_co_u32 v44, s2, v42, s4
	s_wait_alu 0xf1ff
	v_add_co_ci_u32_e64 v45, s2, s5, v43, s2
	global_load_b64 v[42:43], v[42:43], off
	v_add_co_u32 v46, s2, v44, s4
	s_wait_alu 0xf1ff
	v_add_co_ci_u32_e64 v47, s2, s5, v45, s2
	global_load_b64 v[44:45], v[44:45], off
	v_add_co_u32 v48, s2, v46, s4
	s_wait_alu 0xf1ff
	v_add_co_ci_u32_e64 v49, s2, s5, v47, s2
	global_load_b64 v[46:47], v[46:47], off
	v_add_co_u32 v50, s2, v48, s4
	s_wait_alu 0xf1ff
	v_add_co_ci_u32_e64 v51, s2, s5, v49, s2
	global_load_b64 v[48:49], v[48:49], off
	v_add_co_u32 v52, s2, v50, s4
	s_wait_alu 0xf1ff
	v_add_co_ci_u32_e64 v53, s2, s5, v51, s2
	global_load_b64 v[50:51], v[50:51], off
	v_add_co_u32 v54, s2, v52, s4
	s_wait_alu 0xf1ff
	v_add_co_ci_u32_e64 v55, s2, s5, v53, s2
	global_load_b64 v[52:53], v[52:53], off
	v_add_co_u32 v57, s2, v54, s4
	s_wait_alu 0xf1ff
	v_add_co_ci_u32_e64 v58, s2, s5, v55, s2
	global_load_b64 v[54:55], v[54:55], off
	v_add_co_u32 v59, s2, v57, s4
	s_wait_alu 0xf1ff
	v_add_co_ci_u32_e64 v60, s2, s5, v58, s2
	global_load_b64 v[57:58], v[57:58], off
	s_clause 0x1
	global_load_b64 v[63:64], v61, s[8:9] offset:6720
	global_load_b64 v[65:66], v61, s[8:9] offset:7200
	global_load_b64 v[59:60], v[59:60], off
	v_add_nc_u32_e32 v69, 0x400, v61
	v_add_nc_u32_e32 v73, 0x1400, v61
	s_wait_loadcnt 0x11
	v_mul_f32_e32 v67, v3, v5
	v_mul_f32_e32 v5, v2, v5
	s_delay_alu instid0(VALU_DEP_2) | instskip(NEXT) | instid1(VALU_DEP_2)
	v_fmac_f32_e32 v67, v2, v4
	v_fma_f32 v68, v3, v4, -v5
	s_wait_loadcnt 0x10
	v_mul_f32_e32 v2, v19, v7
	s_wait_loadcnt 0xf
	v_dual_mul_f32 v4, v29, v9 :: v_dual_mul_f32 v3, v18, v7
	v_mul_f32_e32 v5, v28, v9
	s_wait_loadcnt 0xe
	v_dual_mul_f32 v7, v35, v11 :: v_dual_fmac_f32 v2, v18, v6
	s_delay_alu instid0(VALU_DEP_3) | instskip(SKIP_4) | instid1(VALU_DEP_3)
	v_dual_fmac_f32 v4, v28, v8 :: v_dual_add_nc_u32 v71, 0xc00, v61
	v_fma_f32 v3, v19, v6, -v3
	v_mul_f32_e32 v6, v34, v11
	v_fma_f32 v5, v29, v8, -v5
	v_fmac_f32_e32 v7, v34, v10
	v_fma_f32 v8, v35, v10, -v6
	ds_store_2addr_b64 v61, v[67:68], v[2:3] offset1:60
	ds_store_2addr_b64 v61, v[4:5], v[7:8] offset0:120 offset1:180
	s_wait_loadcnt 0xa
	v_mul_f32_e32 v2, v43, v17
	v_mul_f32_e32 v3, v42, v17
	s_wait_loadcnt 0x9
	v_mul_f32_e32 v4, v45, v21
	v_mul_f32_e32 v9, v37, v1
	v_dual_mul_f32 v1, v36, v1 :: v_dual_fmac_f32 v2, v42, v16
	s_wait_loadcnt 0x8
	v_mul_f32_e32 v6, v47, v23
	v_dual_mul_f32 v11, v39, v13 :: v_dual_fmac_f32 v4, v44, v20
	v_fmac_f32_e32 v9, v36, v0
	v_fma_f32 v10, v37, v0, -v1
	s_wait_loadcnt 0x7
	v_mul_f32_e32 v8, v49, v25
	v_mul_f32_e32 v13, v38, v13
	v_fmac_f32_e32 v6, v46, v22
	v_dual_fmac_f32 v11, v38, v12 :: v_dual_mul_f32 v0, v41, v15
	s_delay_alu instid0(VALU_DEP_4) | instskip(NEXT) | instid1(VALU_DEP_4)
	v_fmac_f32_e32 v8, v48, v24
	v_fma_f32 v12, v39, v12, -v13
	s_delay_alu instid0(VALU_DEP_3)
	v_dual_mul_f32 v7, v46, v23 :: v_dual_fmac_f32 v0, v40, v14
	ds_store_2addr_b64 v69, v[9:10], v[11:12] offset0:112 offset1:172
	s_wait_loadcnt 0x6
	v_mul_f32_e32 v10, v51, v27
	v_mul_f32_e32 v1, v40, v15
	s_wait_loadcnt 0x5
	v_dual_mul_f32 v9, v48, v25 :: v_dual_mul_f32 v12, v53, v31
	v_mul_f32_e32 v11, v50, v27
	v_fmac_f32_e32 v10, v50, v26
	v_fma_f32 v1, v41, v14, -v1
	s_wait_loadcnt 0x4
	v_mul_f32_e32 v14, v55, v33
	v_fmac_f32_e32 v12, v52, v30
	v_mul_f32_e32 v5, v44, v21
	s_wait_loadcnt 0x0
	v_dual_mul_f32 v15, v54, v33 :: v_dual_mul_f32 v18, v60, v66
	v_mul_f32_e32 v13, v52, v31
	v_fma_f32 v3, v43, v16, -v3
	v_mul_f32_e32 v16, v58, v64
	v_mul_f32_e32 v17, v57, v64
	;; [unrolled: 1-line block ×3, first 2 shown]
	v_fma_f32 v7, v47, v22, -v7
	v_fmac_f32_e32 v14, v54, v32
	v_fmac_f32_e32 v16, v57, v63
	v_fma_f32 v5, v45, v20, -v5
	v_fma_f32 v9, v49, v24, -v9
	;; [unrolled: 1-line block ×4, first 2 shown]
	v_fmac_f32_e32 v18, v59, v65
	v_fma_f32 v13, v53, v30, -v13
	v_fma_f32 v19, v60, v65, -v19
	v_add_nc_u32_e32 v20, 0x1800, v61
	v_fma_f32 v17, v58, v63, -v17
	ds_store_2addr_b64 v70, v[0:1], v[2:3] offset0:104 offset1:164
	ds_store_2addr_b64 v71, v[4:5], v[6:7] offset0:96 offset1:156
	;; [unrolled: 1-line block ×5, first 2 shown]
.LBB0_3:
	s_or_b32 exec_lo, exec_lo, s3
	global_wb scope:SCOPE_SE
	s_wait_dscnt 0x0
	s_wait_kmcnt 0x0
	s_barrier_signal -1
	s_barrier_wait -1
	global_inv scope:SCOPE_SE
                                        ; implicit-def: $vgpr14
                                        ; implicit-def: $vgpr26
                                        ; implicit-def: $vgpr22
                                        ; implicit-def: $vgpr30
                                        ; implicit-def: $vgpr18
                                        ; implicit-def: $vgpr10
                                        ; implicit-def: $vgpr2
                                        ; implicit-def: $vgpr6
	s_and_saveexec_b32 s2, vcc_lo
	s_cbranch_execz .LBB0_5
; %bb.4:
	v_add_nc_u32_e32 v8, 0x400, v61
	v_add_nc_u32_e32 v12, 0x800, v61
	;; [unrolled: 1-line block ×6, first 2 shown]
	ds_load_2addr_b64 v[4:7], v61 offset1:60
	ds_load_2addr_b64 v[0:3], v61 offset0:120 offset1:180
	ds_load_2addr_b64 v[8:11], v8 offset0:112 offset1:172
	;; [unrolled: 1-line block ×7, first 2 shown]
.LBB0_5:
	s_wait_alu 0xfffe
	s_or_b32 exec_lo, exec_lo, s2
	s_wait_dscnt 0x3
	v_dual_sub_f32 v28, v4, v28 :: v_dual_sub_f32 v29, v5, v29
	s_wait_dscnt 0x1
	v_dual_sub_f32 v24, v8, v24 :: v_dual_sub_f32 v25, v9, v25
	v_dual_sub_f32 v20, v0, v20 :: v_dual_sub_f32 v21, v1, v21
	s_wait_dscnt 0x0
	v_dual_sub_f32 v12, v16, v12 :: v_dual_sub_f32 v13, v17, v13
	v_dual_sub_f32 v30, v6, v30 :: v_dual_sub_f32 v31, v7, v31
	;; [unrolled: 1-line block ×5, first 2 shown]
	v_fma_f32 v4, v4, 2.0, -v28
	v_fma_f32 v5, v5, 2.0, -v29
	;; [unrolled: 1-line block ×16, first 2 shown]
	v_dual_sub_f32 v25, v28, v25 :: v_dual_sub_f32 v10, v6, v10
	v_dual_sub_f32 v13, v20, v13 :: v_dual_add_f32 v26, v26, v31
	v_dual_sub_f32 v8, v4, v8 :: v_dual_sub_f32 v9, v5, v9
	v_dual_add_f32 v24, v24, v29 :: v_dual_sub_f32 v11, v7, v11
	v_dual_sub_f32 v16, v0, v16 :: v_dual_sub_f32 v17, v1, v17
	v_fma_f32 v28, v28, 2.0, -v25
	v_dual_add_f32 v12, v12, v21 :: v_dual_sub_f32 v27, v30, v27
	v_fma_f32 v20, v20, 2.0, -v13
	v_dual_sub_f32 v18, v2, v18 :: v_dual_sub_f32 v19, v3, v19
	v_fma_f32 v5, v5, 2.0, -v9
	v_fma_f32 v1, v1, 2.0, -v17
	;; [unrolled: 1-line block ×4, first 2 shown]
	v_dual_sub_f32 v15, v22, v15 :: v_dual_fmamk_f32 v42, v20, 0xbf3504f3, v28
	v_fma_f32 v3, v3, 2.0, -v19
	v_fma_f32 v4, v4, 2.0, -v8
	;; [unrolled: 1-line block ×5, first 2 shown]
	v_dual_add_f32 v14, v14, v23 :: v_dual_sub_f32 v1, v5, v1
	v_fma_f32 v22, v22, 2.0, -v15
	v_dual_fmac_f32 v42, 0xbf3504f3, v21 :: v_dual_sub_f32 v3, v7, v3
	v_dual_fmamk_f32 v46, v13, 0x3f3504f3, v25 :: v_dual_add_f32 v45, v16, v9
	v_fma_f32 v6, v6, 2.0, -v10
	v_fma_f32 v31, v31, 2.0, -v26
	v_fma_f32 v2, v2, 2.0, -v18
	v_dual_sub_f32 v0, v4, v0 :: v_dual_fmamk_f32 v43, v21, 0xbf3504f3, v29
	v_fma_f32 v21, v23, 2.0, -v14
	v_fma_f32 v5, v5, 2.0, -v1
	s_delay_alu instid0(VALU_DEP_4)
	v_dual_fmamk_f32 v47, v12, 0x3f3504f3, v24 :: v_dual_sub_f32 v2, v6, v2
	v_dual_fmac_f32 v46, 0xbf3504f3, v12 :: v_dual_sub_f32 v49, v10, v19
	v_fma_f32 v7, v7, 2.0, -v3
	v_fmamk_f32 v12, v22, 0xbf3504f3, v30
	v_add_f32_e32 v50, v18, v11
	v_fma_f32 v9, v9, 2.0, -v45
	v_fmamk_f32 v32, v21, 0xbf3504f3, v31
	v_dual_fmamk_f32 v48, v15, 0x3f3504f3, v27 :: v_dual_fmamk_f32 v51, v14, 0x3f3504f3, v26
	s_delay_alu instid0(VALU_DEP_4)
	v_fma_f32 v11, v11, 2.0, -v50
	v_fmac_f32_e32 v12, 0xbf3504f3, v21
	v_fma_f32 v4, v4, 2.0, -v0
	v_dual_fmac_f32 v43, 0x3f3504f3, v20 :: v_dual_sub_f32 v44, v8, v17
	v_fma_f32 v28, v28, 2.0, -v42
	v_dual_fmac_f32 v47, 0x3f3504f3, v13 :: v_dual_fmac_f32 v32, 0x3f3504f3, v22
	v_fma_f32 v13, v25, 2.0, -v46
	v_fma_f32 v6, v6, 2.0, -v2
	v_fmac_f32_e32 v48, 0xbf3504f3, v14
	v_fmac_f32_e32 v51, 0x3f3504f3, v15
	v_fmamk_f32 v25, v11, 0xbf3504f3, v9
	v_fma_f32 v30, v30, 2.0, -v12
	v_sub_f32_e32 v20, v4, v6
	v_fma_f32 v29, v29, 2.0, -v43
	v_fma_f32 v33, v24, 2.0, -v47
	;; [unrolled: 1-line block ×4, first 2 shown]
	v_dual_sub_f32 v21, v5, v7 :: v_dual_fmamk_f32 v22, v30, 0xbf6c835e, v28
	v_fma_f32 v7, v26, 2.0, -v51
	v_fma_f32 v8, v8, 2.0, -v44
	s_delay_alu instid0(VALU_DEP_4) | instskip(SKIP_1) | instid1(VALU_DEP_4)
	v_fmamk_f32 v26, v6, 0xbec3ef15, v13
	v_fmamk_f32 v23, v18, 0xbf6c835e, v29
	v_dual_fmac_f32 v22, 0xbec3ef15, v18 :: v_dual_fmamk_f32 v27, v7, 0xbec3ef15, v33
	v_fma_f32 v10, v10, 2.0, -v49
	s_delay_alu instid0(VALU_DEP_4) | instskip(NEXT) | instid1(VALU_DEP_4)
	v_fmac_f32_e32 v26, 0xbf6c835e, v7
	v_fmac_f32_e32 v23, 0x3ec3ef15, v30
	v_fmamk_f32 v35, v51, 0x3f6c835e, v47
	v_dual_fmac_f32 v27, 0x3f6c835e, v6 :: v_dual_fmamk_f32 v34, v48, 0x3f6c835e, v46
	v_fmamk_f32 v30, v12, 0x3ec3ef15, v42
	v_fmamk_f32 v24, v10, 0xbf3504f3, v8
	s_delay_alu instid0(VALU_DEP_4)
	v_fmac_f32_e32 v35, 0x3ec3ef15, v48
	v_fmamk_f32 v31, v32, 0x3ec3ef15, v43
	v_fma_f32 v39, v33, 2.0, -v27
	v_fmac_f32_e32 v30, 0xbf6c835e, v32
	v_dual_fmamk_f32 v32, v49, 0x3f3504f3, v44 :: v_dual_fmamk_f32 v33, v50, 0x3f3504f3, v45
	v_fma_f32 v18, v28, 2.0, -v22
	v_fmac_f32_e32 v24, 0xbf3504f3, v11
	v_dual_fmac_f32 v25, 0x3f3504f3, v10 :: v_dual_sub_f32 v28, v0, v3
	v_fma_f32 v19, v29, 2.0, -v23
	v_add_f32_e32 v29, v2, v1
	v_fmac_f32_e32 v31, 0x3f6c835e, v12
	v_fmac_f32_e32 v32, 0xbf3504f3, v50
	;; [unrolled: 1-line block ×4, first 2 shown]
	v_fma_f32 v16, v4, 2.0, -v20
	v_fma_f32 v17, v5, 2.0, -v21
	;; [unrolled: 1-line block ×13, first 2 shown]
	v_lshlrev_b16 v65, 4, v62
	global_wb scope:SCOPE_SE
	s_barrier_signal -1
	s_barrier_wait -1
	global_inv scope:SCOPE_SE
	s_and_saveexec_b32 s2, vcc_lo
	s_cbranch_execz .LBB0_7
; %bb.6:
	v_and_b32_e32 v0, 0xffff, v65
	s_delay_alu instid0(VALU_DEP_1)
	v_lshlrev_b32_e32 v0, 3, v0
	ds_store_b128 v0, v[16:19]
	ds_store_b128 v0, v[36:39] offset:16
	ds_store_b128 v0, v[40:43] offset:32
	;; [unrolled: 1-line block ×7, first 2 shown]
.LBB0_7:
	s_wait_alu 0xfffe
	s_or_b32 exec_lo, exec_lo, s2
	s_clause 0x1
	s_load_b64 s[2:3], s[0:1], 0x20
	s_load_b64 s[4:5], s[0:1], 0x8
	v_cmp_gt_u16_e64 s0, 0x60, v62
	global_wb scope:SCOPE_SE
	s_wait_dscnt 0x0
	s_wait_kmcnt 0x0
	s_barrier_signal -1
	s_barrier_wait -1
	global_inv scope:SCOPE_SE
	s_and_saveexec_b32 s1, s0
	s_cbranch_execz .LBB0_9
; %bb.8:
	v_add_nc_u32_e32 v0, 0x400, v61
	v_add_nc_u32_e32 v1, 0x800, v61
	;; [unrolled: 1-line block ×4, first 2 shown]
	ds_load_2addr_b64 v[16:19], v61 offset1:96
	ds_load_2addr_b64 v[36:39], v0 offset0:64 offset1:160
	ds_load_2addr_b64 v[40:43], v1 offset0:128 offset1:224
	ds_load_2addr_b64 v[44:47], v2 offset0:64 offset1:160
	ds_load_2addr_b64 v[20:23], v3 offset1:96
.LBB0_9:
	s_wait_alu 0xfffe
	s_or_b32 exec_lo, exec_lo, s1
	v_and_b32_e32 v63, 15, v62
	s_delay_alu instid0(VALU_DEP_1)
	v_mad_co_u64_u32 v[48:49], null, 0x48, v63, s[4:5]
	s_clause 0x4
	global_load_b128 v[4:7], v[48:49], off
	global_load_b128 v[0:3], v[48:49], off offset:16
	global_load_b128 v[12:15], v[48:49], off offset:32
	;; [unrolled: 1-line block ×3, first 2 shown]
	global_load_b64 v[57:58], v[48:49], off offset:64
	global_wb scope:SCOPE_SE
	s_wait_loadcnt_dscnt 0x0
	s_barrier_signal -1
	s_barrier_wait -1
	global_inv scope:SCOPE_SE
	v_mul_f32_e32 v60, v19, v5
	v_dual_mul_f32 v54, v18, v5 :: v_dual_mul_f32 v59, v36, v7
	v_dual_mul_f32 v64, v37, v7 :: v_dual_mul_f32 v55, v38, v1
	;; [unrolled: 1-line block ×5, first 2 shown]
	v_dual_mul_f32 v50, v20, v11 :: v_dual_fmac_f32 v59, v37, v6
	v_dual_mul_f32 v70, v45, v15 :: v_dual_mul_f32 v71, v47, v9
	v_dual_mul_f32 v52, v46, v9 :: v_dual_mul_f32 v73, v23, v58
	;; [unrolled: 1-line block ×3, first 2 shown]
	v_dual_fmac_f32 v54, v19, v4 :: v_dual_fmac_f32 v49, v45, v14
	v_fma_f32 v67, v36, v6, -v64
	v_dual_fmac_f32 v55, v39, v0 :: v_dual_fmac_f32 v48, v41, v2
	v_fma_f32 v19, v40, v2, -v68
	;; [unrolled: 2-line block ×3, first 2 shown]
	v_fma_f32 v60, v38, v0, -v66
	v_fma_f32 v66, v42, v12, -v69
	;; [unrolled: 1-line block ×6, first 2 shown]
	v_fmac_f32_e32 v53, v23, v57
	v_dual_sub_f32 v23, v67, v19 :: v_dual_add_f32 v42, v48, v49
	s_delay_alu instid0(VALU_DEP_3)
	v_dual_add_f32 v69, v59, v50 :: v_dual_sub_f32 v76, v21, v45
	v_dual_fmac_f32 v52, v47, v8 :: v_dual_sub_f32 v37, v48, v49
	v_dual_sub_f32 v36, v59, v50 :: v_dual_sub_f32 v41, v44, v20
	v_sub_f32_e32 v38, v20, v44
	v_dual_add_f32 v39, v67, v20 :: v_dual_sub_f32 v70, v48, v59
	v_dual_sub_f32 v40, v19, v67 :: v_dual_sub_f32 v71, v49, v50
	v_dual_sub_f32 v43, v67, v20 :: v_dual_add_f32 v72, v66, v45
	v_dual_sub_f32 v64, v19, v44 :: v_dual_sub_f32 v75, v60, v66
	v_fma_f32 v68, -0.5, v42, v17
	v_fma_f32 v69, -0.5, v69, v17
	v_dual_add_f32 v22, v19, v44 :: v_dual_sub_f32 v47, v50, v49
	v_dual_sub_f32 v46, v59, v48 :: v_dual_add_f32 v77, v60, v21
	v_dual_sub_f32 v73, v55, v53 :: v_dual_sub_f32 v78, v66, v60
	v_dual_sub_f32 v74, v51, v52 :: v_dual_sub_f32 v79, v45, v21
	v_dual_add_f32 v80, v51, v52 :: v_dual_sub_f32 v81, v60, v21
	v_add_f32_e32 v38, v23, v38
	v_fma_f32 v23, -0.5, v39, v16
	v_add_f32_e32 v39, v40, v41
	v_add_f32_e32 v41, v70, v71
	v_fma_f32 v42, -0.5, v72, v18
	v_add_f32_e32 v72, v75, v76
	v_fmamk_f32 v70, v43, 0xbf737871, v68
	v_dual_fmamk_f32 v71, v64, 0x3f737871, v69 :: v_dual_sub_f32 v82, v66, v45
	v_dual_sub_f32 v83, v55, v51 :: v_dual_sub_f32 v84, v53, v52
	v_add_f32_e32 v85, v55, v53
	v_fma_f32 v22, -0.5, v22, v16
	v_add_f32_e32 v40, v46, v47
	s_delay_alu instid0(VALU_DEP_4)
	v_dual_add_f32 v75, v78, v79 :: v_dual_add_f32 v76, v83, v84
	v_fma_f32 v78, -0.5, v80, v54
	v_fmac_f32_e32 v69, 0xbf737871, v64
	v_fmamk_f32 v80, v73, 0x3f737871, v42
	v_dual_fmac_f32 v70, 0xbf167918, v64 :: v_dual_fmac_f32 v71, 0xbf167918, v43
	v_dual_sub_f32 v86, v51, v55 :: v_dual_sub_f32 v87, v52, v53
	v_fma_f32 v88, -0.5, v77, v18
	v_fma_f32 v77, -0.5, v85, v54
	v_fmamk_f32 v47, v36, 0x3f737871, v22
	v_dual_fmac_f32 v70, 0x3e9e377a, v40 :: v_dual_fmac_f32 v71, 0x3e9e377a, v41
	v_fmamk_f32 v84, v81, 0xbf737871, v78
	v_dual_fmac_f32 v78, 0x3f737871, v81 :: v_dual_add_f32 v79, v86, v87
	v_fmac_f32_e32 v22, 0xbf737871, v36
	v_dual_fmamk_f32 v46, v37, 0xbf737871, v23 :: v_dual_fmamk_f32 v83, v74, 0xbf737871, v88
	v_dual_fmac_f32 v23, 0x3f737871, v37 :: v_dual_fmac_f32 v68, 0x3f737871, v43
	v_fmac_f32_e32 v42, 0xbf737871, v73
	v_dual_fmac_f32 v88, 0x3f737871, v74 :: v_dual_fmamk_f32 v85, v82, 0x3f737871, v77
	v_fmac_f32_e32 v77, 0xbf737871, v82
	v_dual_fmac_f32 v80, 0x3f167918, v74 :: v_dual_fmac_f32 v83, 0x3f167918, v73
	v_dual_fmac_f32 v78, 0x3f167918, v82 :: v_dual_fmac_f32 v47, 0x3f167918, v37
	v_fmac_f32_e32 v46, 0x3f167918, v36
	v_dual_fmac_f32 v22, 0xbf167918, v37 :: v_dual_fmac_f32 v23, 0xbf167918, v36
	v_dual_fmac_f32 v42, 0xbf167918, v74 :: v_dual_fmac_f32 v85, 0xbf167918, v81
	v_fmac_f32_e32 v77, 0x3f167918, v81
	v_dual_fmac_f32 v80, 0x3e9e377a, v72 :: v_dual_fmac_f32 v83, 0x3e9e377a, v75
	v_fmac_f32_e32 v78, 0x3e9e377a, v76
	v_dual_fmac_f32 v68, 0x3f167918, v64 :: v_dual_fmac_f32 v69, 0x3f167918, v43
	v_dual_fmac_f32 v47, 0x3e9e377a, v38 :: v_dual_fmac_f32 v46, 0x3e9e377a, v39
	;; [unrolled: 1-line block ×4, first 2 shown]
	v_fmac_f32_e32 v77, 0x3e9e377a, v79
	v_mul_f32_e32 v74, 0xbf167918, v80
	v_mul_f32_e32 v39, 0x3f4f1bbd, v78
	v_dual_fmac_f32 v68, 0x3e9e377a, v40 :: v_dual_fmac_f32 v69, 0x3e9e377a, v41
	v_fmac_f32_e32 v88, 0xbf167918, v73
	v_mul_f32_e32 v73, 0x3f737871, v85
	s_delay_alu instid0(VALU_DEP_4) | instskip(SKIP_4) | instid1(VALU_DEP_4)
	v_fma_f32 v79, 0xbf167918, v42, -v39
	v_fmac_f32_e32 v84, 0xbf167918, v82
	v_mul_f32_e32 v38, 0x3e9e377a, v77
	v_fmac_f32_e32 v88, 0x3e9e377a, v75
	v_fmac_f32_e32 v73, 0x3e9e377a, v83
	v_dual_sub_f32 v43, v68, v79 :: v_dual_fmac_f32 v84, 0x3e9e377a, v76
	v_mul_f32_e32 v76, 0xbf737871, v83
	s_delay_alu instid0(VALU_DEP_4) | instskip(SKIP_1) | instid1(VALU_DEP_4)
	v_mul_f32_e32 v36, 0x3e9e377a, v88
	v_lshrrev_b32_e32 v64, 4, v62
	v_mul_f32_e32 v72, 0x3f167918, v84
	v_mul_f32_e32 v37, 0x3f4f1bbd, v42
	s_delay_alu instid0(VALU_DEP_4)
	v_fma_f32 v77, 0x3f737871, v77, -v36
	v_fmac_f32_e32 v74, 0x3f4f1bbd, v84
	v_fmac_f32_e32 v76, 0x3e9e377a, v85
	;; [unrolled: 1-line block ×3, first 2 shown]
	v_fma_f32 v75, 0x3f167918, v78, -v37
	v_fma_f32 v78, 0xbf737871, v88, -v38
	v_sub_f32_e32 v38, v46, v73
	v_sub_f32_e32 v40, v23, v77
	;; [unrolled: 1-line block ×7, first 2 shown]
	s_and_saveexec_b32 s1, s0
	s_cbranch_execz .LBB0_11
; %bb.10:
	v_dual_add_f32 v17, v17, v59 :: v_dual_add_f32 v18, v18, v60
	v_dual_add_f32 v54, v54, v55 :: v_dual_add_f32 v47, v47, v72
	s_delay_alu instid0(VALU_DEP_2) | instskip(NEXT) | instid1(VALU_DEP_2)
	v_dual_add_f32 v17, v17, v48 :: v_dual_add_f32 v16, v16, v67
	v_add_f32_e32 v48, v54, v51
	s_delay_alu instid0(VALU_DEP_2) | instskip(NEXT) | instid1(VALU_DEP_1)
	v_dual_add_f32 v18, v18, v66 :: v_dual_add_f32 v17, v17, v49
	v_add_f32_e32 v18, v18, v45
	s_delay_alu instid0(VALU_DEP_4) | instskip(NEXT) | instid1(VALU_DEP_4)
	v_add_f32_e32 v16, v16, v19
	v_add_f32_e32 v19, v48, v52
	v_dual_add_f32 v45, v71, v76 :: v_dual_add_f32 v48, v70, v74
	s_delay_alu instid0(VALU_DEP_3) | instskip(SKIP_1) | instid1(VALU_DEP_4)
	v_dual_add_f32 v51, v18, v21 :: v_dual_add_f32 v16, v16, v44
	v_mul_u32_u24_e32 v18, 0xa0, v64
	v_dual_add_f32 v44, v17, v50 :: v_dual_add_f32 v49, v19, v53
	s_delay_alu instid0(VALU_DEP_3) | instskip(NEXT) | instid1(VALU_DEP_3)
	v_dual_add_f32 v19, v69, v78 :: v_dual_add_f32 v16, v16, v20
	v_or_b32_e32 v52, v18, v63
	v_add_f32_e32 v18, v23, v77
	s_delay_alu instid0(VALU_DEP_4)
	v_sub_f32_e32 v21, v44, v49
	v_add_f32_e32 v50, v44, v49
	v_sub_f32_e32 v20, v16, v51
	v_add_f32_e32 v49, v16, v51
	v_dual_add_f32 v44, v46, v73 :: v_dual_lshlrev_b32 v23, 3, v52
	v_add_f32_e32 v17, v68, v79
	v_add_f32_e32 v16, v22, v75
	ds_store_2addr_b64 v23, v[49:50], v[47:48] offset1:16
	ds_store_2addr_b64 v23, v[44:45], v[18:19] offset0:32 offset1:48
	ds_store_2addr_b64 v23, v[16:17], v[20:21] offset0:64 offset1:80
	;; [unrolled: 1-line block ×4, first 2 shown]
.LBB0_11:
	s_wait_alu 0xfffe
	s_or_b32 exec_lo, exec_lo, s1
	v_mad_co_u64_u32 v[44:45], null, v62, 40, s[4:5]
	s_load_b128 s[4:7], s[2:3], 0x0
	global_wb scope:SCOPE_SE
	s_wait_dscnt 0x0
	s_wait_kmcnt 0x0
	s_barrier_signal -1
	s_barrier_wait -1
	global_inv scope:SCOPE_SE
	s_clause 0x2
	global_load_b128 v[20:23], v[44:45], off offset:1152
	global_load_b128 v[16:19], v[44:45], off offset:1168
	global_load_b64 v[59:60], v[44:45], off offset:1184
	v_add_nc_u32_e32 v67, 0x800, v61
	v_add_nc_u32_e32 v66, 0x1400, v61
	ds_load_2addr_b64 v[44:47], v61 offset1:160
	ds_load_2addr_b64 v[48:51], v67 offset0:64 offset1:224
	ds_load_2addr_b64 v[52:55], v66 offset1:160
	s_wait_loadcnt_dscnt 0x201
	v_mul_f32_e32 v71, v48, v23
	s_wait_loadcnt_dscnt 0x100
	v_dual_mul_f32 v69, v46, v21 :: v_dual_mul_f32 v74, v53, v19
	v_mul_f32_e32 v70, v49, v23
	s_wait_loadcnt 0x0
	v_dual_mul_f32 v72, v51, v17 :: v_dual_mul_f32 v77, v54, v60
	v_dual_mul_f32 v73, v50, v17 :: v_dual_mul_f32 v76, v55, v60
	;; [unrolled: 1-line block ×3, first 2 shown]
	v_fmac_f32_e32 v71, v49, v22
	v_fmac_f32_e32 v69, v47, v20
	v_fma_f32 v47, v48, v22, -v70
	v_fma_f32 v48, v50, v16, -v72
	;; [unrolled: 1-line block ×5, first 2 shown]
	v_fmac_f32_e32 v73, v51, v16
	s_delay_alu instid0(VALU_DEP_4) | instskip(SKIP_1) | instid1(VALU_DEP_4)
	v_dual_fmac_f32 v75, v53, v18 :: v_dual_add_f32 v52, v47, v49
	v_add_f32_e32 v54, v45, v71
	v_add_f32_e32 v68, v46, v48
	v_dual_add_f32 v70, v48, v50 :: v_dual_fmac_f32 v77, v55, v59
	v_dual_add_f32 v72, v69, v73 :: v_dual_add_f32 v51, v44, v47
	v_dual_sub_f32 v53, v71, v75 :: v_dual_sub_f32 v48, v48, v50
	s_delay_alu instid0(VALU_DEP_4) | instskip(NEXT) | instid1(VALU_DEP_4)
	v_dual_add_f32 v55, v71, v75 :: v_dual_add_f32 v50, v68, v50
	v_dual_sub_f32 v71, v73, v77 :: v_dual_fmac_f32 v46, -0.5, v70
	v_add_f32_e32 v73, v73, v77
	v_fma_f32 v74, -0.5, v52, v44
	v_sub_f32_e32 v47, v47, v49
	v_fma_f32 v55, -0.5, v55, v45
	v_add_f32_e32 v52, v72, v77
	v_fmac_f32_e32 v69, -0.5, v73
	s_delay_alu instid0(VALU_DEP_1) | instskip(SKIP_2) | instid1(VALU_DEP_3)
	v_dual_fmamk_f32 v68, v48, 0xbf5db3d7, v69 :: v_dual_add_f32 v49, v51, v49
	v_dual_add_f32 v51, v54, v75 :: v_dual_fmamk_f32 v54, v53, 0x3f5db3d7, v74
	v_dual_fmac_f32 v74, 0xbf5db3d7, v53 :: v_dual_fmamk_f32 v53, v47, 0xbf5db3d7, v55
	v_dual_mul_f32 v70, 0x3f5db3d7, v68 :: v_dual_fmac_f32 v55, 0x3f5db3d7, v47
	s_delay_alu instid0(VALU_DEP_4) | instskip(SKIP_3) | instid1(VALU_DEP_3)
	v_dual_fmamk_f32 v47, v71, 0x3f5db3d7, v46 :: v_dual_add_f32 v44, v49, v50
	v_fmac_f32_e32 v69, 0x3f5db3d7, v48
	v_fmac_f32_e32 v46, 0xbf5db3d7, v71
	v_sub_f32_e32 v50, v49, v50
	v_dual_fmac_f32 v70, 0.5, v47 :: v_dual_mul_f32 v73, -0.5, v69
	s_delay_alu instid0(VALU_DEP_3) | instskip(NEXT) | instid1(VALU_DEP_2)
	v_mul_f32_e32 v71, -0.5, v46
	v_fmac_f32_e32 v73, 0xbf5db3d7, v46
	s_delay_alu instid0(VALU_DEP_3) | instskip(SKIP_2) | instid1(VALU_DEP_2)
	v_dual_add_f32 v46, v54, v70 :: v_dual_add_f32 v45, v51, v52
	v_dual_mul_f32 v72, 0xbf5db3d7, v47 :: v_dual_sub_f32 v51, v51, v52
	v_sub_f32_e32 v52, v54, v70
	v_dual_fmac_f32 v72, 0.5, v68 :: v_dual_fmac_f32 v71, 0x3f5db3d7, v69
	s_delay_alu instid0(VALU_DEP_1)
	v_dual_add_f32 v47, v53, v72 :: v_dual_add_f32 v48, v74, v71
	v_dual_sub_f32 v54, v74, v71 :: v_dual_add_f32 v49, v55, v73
	v_sub_f32_e32 v53, v53, v72
	v_sub_f32_e32 v55, v55, v73
	ds_store_2addr_b64 v61, v[44:45], v[46:47] offset1:160
	ds_store_2addr_b64 v67, v[48:49], v[50:51] offset0:64 offset1:224
	ds_store_2addr_b64 v66, v[52:53], v[54:55] offset1:160
	global_wb scope:SCOPE_SE
	s_wait_dscnt 0x0
	s_barrier_signal -1
	s_barrier_wait -1
	global_inv scope:SCOPE_SE
	s_and_saveexec_b32 s1, vcc_lo
	s_cbranch_execz .LBB0_13
; %bb.12:
	s_add_nc_u64 s[2:3], s[8:9], 0x1e00
	s_clause 0xf
	global_load_b64 v[72:73], v61, s[8:9] offset:7680
	global_load_b64 v[74:75], v61, s[2:3] offset:480
	;; [unrolled: 1-line block ×16, first 2 shown]
	ds_load_2addr_b64 v[68:71], v61 offset1:60
	v_add_nc_u32_e32 v110, 0x400, v61
	s_wait_loadcnt_dscnt 0xe00
	v_dual_mul_f32 v77, v69, v73 :: v_dual_mul_f32 v78, v71, v75
	v_dual_mul_f32 v76, v68, v73 :: v_dual_mul_f32 v73, v70, v75
	s_delay_alu instid0(VALU_DEP_2) | instskip(NEXT) | instid1(VALU_DEP_2)
	v_fma_f32 v75, v68, v72, -v77
	v_dual_fmac_f32 v76, v69, v72 :: v_dual_fmac_f32 v73, v71, v74
	s_delay_alu instid0(VALU_DEP_4)
	v_fma_f32 v72, v70, v74, -v78
	ds_store_2addr_b64 v61, v[75:76], v[72:73] offset1:60
	ds_load_2addr_b64 v[68:71], v61 offset0:120 offset1:180
	ds_load_2addr_b64 v[72:75], v110 offset0:112 offset1:172
	;; [unrolled: 1-line block ×3, first 2 shown]
	s_wait_loadcnt_dscnt 0xd02
	v_mul_f32_e32 v108, v69, v81
	v_mul_f32_e32 v109, v68, v81
	s_wait_loadcnt 0xc
	v_mul_f32_e32 v111, v71, v83
	s_wait_loadcnt_dscnt 0xb01
	v_dual_mul_f32 v81, v70, v83 :: v_dual_mul_f32 v112, v73, v85
	s_wait_loadcnt 0xa
	v_mul_f32_e32 v113, v75, v87
	v_mul_f32_e32 v83, v72, v85
	s_wait_loadcnt_dscnt 0x900
	v_dual_mul_f32 v85, v74, v87 :: v_dual_mul_f32 v114, v77, v89
	v_mul_f32_e32 v87, v76, v89
	s_wait_loadcnt 0x8
	v_mul_f32_e32 v115, v79, v91
	v_mul_f32_e32 v89, v78, v91
	v_fma_f32 v108, v68, v80, -v108
	v_fmac_f32_e32 v109, v69, v80
	v_fma_f32 v80, v70, v82, -v111
	v_fmac_f32_e32 v81, v71, v82
	;; [unrolled: 2-line block ×4, first 2 shown]
	v_add_nc_u32_e32 v75, 0xc00, v61
	v_fma_f32 v86, v76, v88, -v114
	v_fmac_f32_e32 v87, v77, v88
	v_fma_f32 v88, v78, v90, -v115
	v_fmac_f32_e32 v89, v79, v90
	ds_store_2addr_b64 v61, v[108:109], v[80:81] offset0:120 offset1:180
	ds_store_2addr_b64 v110, v[82:83], v[84:85] offset0:112 offset1:172
	;; [unrolled: 1-line block ×3, first 2 shown]
	ds_load_2addr_b64 v[67:70], v75 offset0:96 offset1:156
	v_add_nc_u32_e32 v91, 0x1000, v61
	s_wait_loadcnt_dscnt 0x700
	v_mul_f32_e32 v71, v68, v93
	s_wait_loadcnt 0x6
	v_dual_mul_f32 v72, v67, v93 :: v_dual_mul_f32 v73, v70, v95
	v_mul_f32_e32 v74, v69, v95
	s_delay_alu instid0(VALU_DEP_3) | instskip(NEXT) | instid1(VALU_DEP_3)
	v_fma_f32 v71, v67, v92, -v71
	v_fmac_f32_e32 v72, v68, v92
	s_delay_alu instid0(VALU_DEP_4) | instskip(NEXT) | instid1(VALU_DEP_4)
	v_fma_f32 v73, v69, v94, -v73
	v_fmac_f32_e32 v74, v70, v94
	v_add_nc_u32_e32 v92, 0x1800, v61
	ds_store_2addr_b64 v75, v[71:72], v[73:74] offset0:96 offset1:156
	ds_load_2addr_b64 v[67:70], v91 offset0:88 offset1:148
	ds_load_2addr_b64 v[71:74], v66 offset0:80 offset1:140
	ds_load_2addr_b64 v[75:78], v92 offset0:72 offset1:132
	s_wait_loadcnt_dscnt 0x502
	v_mul_f32_e32 v80, v67, v97
	s_wait_loadcnt_dscnt 0x100
	v_dual_mul_f32 v88, v75, v105 :: v_dual_mul_f32 v81, v70, v99
	v_mul_f32_e32 v82, v69, v99
	s_wait_loadcnt 0x0
	v_dual_mul_f32 v90, v77, v107 :: v_dual_mul_f32 v79, v68, v97
	v_mul_f32_e32 v83, v72, v101
	v_dual_mul_f32 v84, v71, v101 :: v_dual_mul_f32 v85, v74, v103
	s_delay_alu instid0(VALU_DEP_3)
	v_fmac_f32_e32 v90, v78, v106
	v_dual_mul_f32 v86, v73, v103 :: v_dual_mul_f32 v87, v76, v105
	v_mul_f32_e32 v89, v78, v107
	v_fma_f32 v79, v67, v96, -v79
	v_fmac_f32_e32 v80, v68, v96
	v_fmac_f32_e32 v82, v70, v98
	;; [unrolled: 1-line block ×3, first 2 shown]
	v_fma_f32 v81, v69, v98, -v81
	v_fma_f32 v83, v71, v100, -v83
	v_fmac_f32_e32 v84, v72, v100
	v_fma_f32 v85, v73, v102, -v85
	v_fmac_f32_e32 v86, v74, v102
	v_fma_f32 v87, v75, v104, -v87
	v_fma_f32 v89, v77, v106, -v89
	ds_store_2addr_b64 v91, v[79:80], v[81:82] offset0:88 offset1:148
	ds_store_2addr_b64 v66, v[83:84], v[85:86] offset0:80 offset1:140
	ds_store_2addr_b64 v92, v[87:88], v[89:90] offset0:72 offset1:132
.LBB0_13:
	s_wait_alu 0xfffe
	s_or_b32 exec_lo, exec_lo, s1
	global_wb scope:SCOPE_SE
	s_wait_dscnt 0x0
	s_barrier_signal -1
	s_barrier_wait -1
	global_inv scope:SCOPE_SE
	s_and_saveexec_b32 s1, vcc_lo
	s_cbranch_execz .LBB0_15
; %bb.14:
	v_add_nc_u32_e32 v24, 0x400, v61
	v_add_nc_u32_e32 v25, 0x800, v61
	;; [unrolled: 1-line block ×3, first 2 shown]
	ds_load_2addr_b64 v[44:47], v61 offset1:60
	ds_load_2addr_b64 v[48:51], v61 offset0:120 offset1:180
	v_add_nc_u32_e32 v28, 0x1400, v61
	ds_load_2addr_b64 v[52:55], v24 offset0:112 offset1:172
	v_add_nc_u32_e32 v24, 0x1000, v61
	v_add_nc_u32_e32 v32, 0x1800, v61
	ds_load_2addr_b64 v[36:39], v25 offset0:104 offset1:164
	ds_load_2addr_b64 v[40:43], v26 offset0:96 offset1:156
	;; [unrolled: 1-line block ×5, first 2 shown]
.LBB0_15:
	s_wait_alu 0xfffe
	s_or_b32 exec_lo, exec_lo, s1
	s_wait_dscnt 0x3
	v_dual_sub_f32 v40, v44, v40 :: v_dual_sub_f32 v41, v45, v41
	s_wait_dscnt 0x1
	v_dual_sub_f32 v28, v52, v28 :: v_dual_sub_f32 v29, v53, v29
	v_dual_sub_f32 v24, v48, v24 :: v_dual_sub_f32 v25, v49, v25
	s_wait_dscnt 0x0
	v_dual_sub_f32 v32, v36, v32 :: v_dual_sub_f32 v33, v37, v33
	v_fma_f32 v44, v44, 2.0, -v40
	v_fma_f32 v52, v52, 2.0, -v28
	;; [unrolled: 1-line block ×3, first 2 shown]
	v_dual_sub_f32 v42, v46, v42 :: v_dual_sub_f32 v43, v47, v43
	v_fma_f32 v36, v36, 2.0, -v32
	v_dual_sub_f32 v30, v54, v30 :: v_dual_sub_f32 v31, v55, v31
	v_fma_f32 v45, v45, 2.0, -v41
	v_fma_f32 v53, v53, 2.0, -v29
	;; [unrolled: 1-line block ×5, first 2 shown]
	v_dual_sub_f32 v26, v50, v26 :: v_dual_sub_f32 v27, v51, v27
	v_dual_sub_f32 v34, v38, v34 :: v_dual_sub_f32 v35, v39, v35
	v_fma_f32 v55, v55, 2.0, -v31
	v_dual_sub_f32 v52, v44, v52 :: v_dual_sub_f32 v53, v45, v53
	v_sub_f32_e32 v28, v41, v28
	v_dual_sub_f32 v36, v48, v36 :: v_dual_sub_f32 v37, v49, v37
	v_dual_sub_f32 v32, v25, v32 :: v_dual_add_f32 v31, v31, v42
	v_fma_f32 v46, v46, 2.0, -v42
	v_fma_f32 v54, v54, 2.0, -v30
	;; [unrolled: 1-line block ×3, first 2 shown]
	v_add_f32_e32 v29, v29, v40
	v_fma_f32 v44, v44, 2.0, -v52
	v_dual_add_f32 v33, v33, v24 :: v_dual_sub_f32 v66, v43, v30
	v_fma_f32 v48, v48, 2.0, -v36
	v_sub_f32_e32 v55, v47, v55
	v_fma_f32 v41, v41, 2.0, -v28
	v_fma_f32 v25, v25, 2.0, -v32
	s_delay_alu instid0(VALU_DEP_4)
	v_dual_add_f32 v35, v35, v26 :: v_dual_sub_f32 v68, v44, v48
	v_fma_f32 v50, v50, 2.0, -v26
	v_fma_f32 v51, v51, 2.0, -v27
	;; [unrolled: 1-line block ×4, first 2 shown]
	v_sub_f32_e32 v54, v46, v54
	v_fma_f32 v40, v40, 2.0, -v29
	v_fma_f32 v49, v49, 2.0, -v37
	;; [unrolled: 1-line block ×5, first 2 shown]
	v_fmamk_f32 v70, v25, 0xbf3504f3, v41
	v_dual_sub_f32 v38, v50, v38 :: v_dual_sub_f32 v39, v51, v39
	v_dual_sub_f32 v34, v27, v34 :: v_dual_fmamk_f32 v67, v24, 0xbf3504f3, v40
	s_delay_alu instid0(VALU_DEP_3)
	v_dual_sub_f32 v69, v45, v49 :: v_dual_fmac_f32 v70, 0xbf3504f3, v24
	v_fma_f32 v46, v46, 2.0, -v54
	v_fma_f32 v30, v47, 2.0, -v55
	;; [unrolled: 1-line block ×5, first 2 shown]
	v_dual_fmac_f32 v67, 0x3f3504f3, v25 :: v_dual_add_f32 v72, v37, v52
	v_fma_f32 v25, v27, 2.0, -v34
	v_dual_fmamk_f32 v71, v33, 0x3f3504f3, v29 :: v_dual_fmamk_f32 v74, v32, 0x3f3504f3, v28
	v_sub_f32_e32 v73, v53, v36
	v_fma_f32 v36, v41, 2.0, -v70
	v_fmamk_f32 v41, v26, 0xbf3504f3, v42
	s_delay_alu instid0(VALU_DEP_4) | instskip(SKIP_2) | instid1(VALU_DEP_4)
	v_dual_fmac_f32 v71, 0x3f3504f3, v32 :: v_dual_sub_f32 v50, v30, v50
	v_fma_f32 v32, v52, 2.0, -v72
	v_dual_sub_f32 v49, v46, v47 :: v_dual_fmamk_f32 v52, v25, 0xbf3504f3, v43
	v_dual_fmac_f32 v41, 0x3f3504f3, v25 :: v_dual_fmamk_f32 v76, v34, 0x3f3504f3, v66
	v_fma_f32 v27, v44, 2.0, -v68
	v_fma_f32 v44, v45, 2.0, -v69
	;; [unrolled: 1-line block ×4, first 2 shown]
	v_fmac_f32_e32 v52, 0xbf3504f3, v26
	v_fma_f32 v26, v42, 2.0, -v41
	v_fmamk_f32 v42, v35, 0x3f3504f3, v31
	v_fmac_f32_e32 v74, 0xbf3504f3, v33
	v_fma_f32 v48, v29, 2.0, -v71
	v_fma_f32 v24, v46, 2.0, -v49
	v_sub_f32_e32 v49, v69, v49
	v_dual_sub_f32 v75, v55, v38 :: v_dual_fmamk_f32 v30, v26, 0xbf6c835e, v40
	v_dual_fmac_f32 v42, 0x3f3504f3, v34 :: v_dual_sub_f32 v29, v44, v25
	v_fma_f32 v33, v43, 2.0, -v52
	v_fma_f32 v37, v53, 2.0, -v73
	;; [unrolled: 1-line block ×3, first 2 shown]
	v_dual_add_f32 v39, v39, v54 :: v_dual_fmac_f32 v76, 0xbf3504f3, v35
	v_sub_f32_e32 v28, v27, v24
	v_fma_f32 v35, v31, 2.0, -v42
	v_fmamk_f32 v31, v33, 0xbf6c835e, v36
	v_fma_f32 v38, v55, 2.0, -v75
	v_fma_f32 v43, v66, 2.0, -v76
	;; [unrolled: 1-line block ×3, first 2 shown]
	s_delay_alu instid0(VALU_DEP_4) | instskip(NEXT) | instid1(VALU_DEP_4)
	v_dual_fmamk_f32 v46, v35, 0xbec3ef15, v48 :: v_dual_fmac_f32 v31, 0xbec3ef15, v26
	v_fmamk_f32 v45, v38, 0xbf3504f3, v37
	s_delay_alu instid0(VALU_DEP_4) | instskip(SKIP_1) | instid1(VALU_DEP_4)
	v_fmamk_f32 v47, v43, 0xbec3ef15, v53
	v_fma_f32 v25, v44, 2.0, -v29
	v_fmac_f32_e32 v46, 0x3f6c835e, v43
	s_delay_alu instid0(VALU_DEP_4) | instskip(SKIP_2) | instid1(VALU_DEP_4)
	v_dual_fmamk_f32 v44, v34, 0xbf3504f3, v32 :: v_dual_fmac_f32 v45, 0xbf3504f3, v34
	v_fmamk_f32 v51, v52, 0x3ec3ef15, v70
	v_fmamk_f32 v55, v76, 0x3f6c835e, v74
	v_fma_f32 v34, v48, 2.0, -v46
	v_dual_add_f32 v48, v50, v68 :: v_dual_fmac_f32 v47, 0xbf6c835e, v35
	v_fmamk_f32 v50, v41, 0x3ec3ef15, v67
	v_fmac_f32_e32 v30, 0x3ec3ef15, v33
	v_fmac_f32_e32 v44, 0x3f3504f3, v38
	;; [unrolled: 1-line block ×3, first 2 shown]
	v_fma_f32 v35, v53, 2.0, -v47
	v_fmac_f32_e32 v50, 0x3f6c835e, v52
	v_fmamk_f32 v52, v39, 0x3f3504f3, v72
	v_fmamk_f32 v53, v75, 0x3f3504f3, v73
	;; [unrolled: 1-line block ×3, first 2 shown]
	v_fmac_f32_e32 v55, 0xbec3ef15, v42
	v_fma_f32 v24, v27, 2.0, -v28
	v_fmac_f32_e32 v52, 0x3f3504f3, v75
	v_fmac_f32_e32 v53, 0xbf3504f3, v39
	;; [unrolled: 1-line block ×3, first 2 shown]
	v_fma_f32 v26, v40, 2.0, -v30
	v_fma_f32 v27, v36, 2.0, -v31
	;; [unrolled: 1-line block ×12, first 2 shown]
	global_wb scope:SCOPE_SE
	s_barrier_signal -1
	s_barrier_wait -1
	global_inv scope:SCOPE_SE
	s_and_saveexec_b32 s1, vcc_lo
	s_cbranch_execz .LBB0_17
; %bb.16:
	v_and_b32_e32 v65, 0xffff, v65
	s_delay_alu instid0(VALU_DEP_1)
	v_lshlrev_b32_e32 v65, 3, v65
	ds_store_b128 v65, v[24:27]
	ds_store_b128 v65, v[32:35] offset:16
	ds_store_b128 v65, v[36:39] offset:32
	ds_store_b128 v65, v[40:43] offset:48
	ds_store_b128 v65, v[28:31] offset:64
	ds_store_b128 v65, v[44:47] offset:80
	ds_store_b128 v65, v[48:51] offset:96
	ds_store_b128 v65, v[52:55] offset:112
.LBB0_17:
	s_wait_alu 0xfffe
	s_or_b32 exec_lo, exec_lo, s1
	global_wb scope:SCOPE_SE
	s_wait_dscnt 0x0
	s_barrier_signal -1
	s_barrier_wait -1
	global_inv scope:SCOPE_SE
	s_and_saveexec_b32 s1, s0
	s_cbranch_execz .LBB0_19
; %bb.18:
	v_add_nc_u32_e32 v28, 0x400, v61
	v_add_nc_u32_e32 v29, 0x800, v61
	;; [unrolled: 1-line block ×4, first 2 shown]
	ds_load_2addr_b64 v[24:27], v61 offset1:96
	ds_load_2addr_b64 v[32:35], v28 offset0:64 offset1:160
	ds_load_2addr_b64 v[36:39], v29 offset0:128 offset1:224
	;; [unrolled: 1-line block ×3, first 2 shown]
	ds_load_2addr_b64 v[28:31], v31 offset1:96
.LBB0_19:
	s_wait_alu 0xfffe
	s_or_b32 exec_lo, exec_lo, s1
	global_wb scope:SCOPE_SE
	s_wait_dscnt 0x0
	s_barrier_signal -1
	s_barrier_wait -1
	global_inv scope:SCOPE_SE
	s_and_saveexec_b32 s1, s0
	s_cbranch_execz .LBB0_21
; %bb.20:
	v_mul_f32_e32 v47, v11, v28
	v_mul_f32_e32 v48, v7, v33
	;; [unrolled: 1-line block ×5, first 2 shown]
	v_fma_f32 v29, v10, v29, -v47
	v_fmac_f32_e32 v48, v6, v32
	v_dual_fmac_f32 v11, v10, v28 :: v_dual_mul_f32 v32, v3, v37
	v_mul_f32_e32 v44, v3, v36
	v_mul_f32_e32 v15, v15, v41
	v_fma_f32 v7, v6, v33, -v46
	s_delay_alu instid0(VALU_DEP_4) | instskip(NEXT) | instid1(VALU_DEP_4)
	v_dual_sub_f32 v3, v48, v11 :: v_dual_fmac_f32 v32, v2, v36
	v_fma_f32 v44, v2, v37, -v44
	v_mul_f32_e32 v2, v58, v31
	v_fma_f32 v45, v14, v41, -v45
	v_mul_f32_e32 v37, v13, v39
	v_dual_fmac_f32 v15, v14, v40 :: v_dual_mul_f32 v14, v9, v43
	v_sub_f32_e32 v6, v7, v44
	s_delay_alu instid0(VALU_DEP_4) | instskip(NEXT) | instid1(VALU_DEP_4)
	v_add_f32_e32 v33, v45, v44
	v_dual_fmac_f32 v37, v12, v38 :: v_dual_sub_f32 v10, v29, v45
	v_mul_f32_e32 v36, v5, v27
	v_mul_f32_e32 v5, v5, v26
	s_delay_alu instid0(VALU_DEP_4) | instskip(SKIP_3) | instid1(VALU_DEP_3)
	v_fma_f32 v28, -0.5, v33, v25
	v_mul_f32_e32 v33, v1, v35
	v_dual_mul_f32 v1, v1, v34 :: v_dual_sub_f32 v46, v44, v7
	v_dual_sub_f32 v41, v32, v15 :: v_dual_add_f32 v6, v10, v6
	v_fmac_f32_e32 v33, v0, v34
	s_delay_alu instid0(VALU_DEP_3) | instskip(SKIP_4) | instid1(VALU_DEP_4)
	v_fma_f32 v0, v0, v35, -v1
	v_mul_f32_e32 v13, v13, v38
	v_fmac_f32_e32 v14, v8, v42
	v_fmac_f32_e32 v36, v4, v26
	v_fma_f32 v4, v4, v27, -v5
	v_fma_f32 v12, v12, v39, -v13
	v_mul_f32_e32 v9, v9, v42
	v_add_f32_e32 v42, v29, v7
	s_delay_alu instid0(VALU_DEP_2) | instskip(SKIP_2) | instid1(VALU_DEP_4)
	v_fma_f32 v8, v8, v43, -v9
	v_fmac_f32_e32 v2, v57, v30
	v_dual_mul_f32 v9, v58, v30 :: v_dual_sub_f32 v30, v0, v12
	v_fma_f32 v42, -0.5, v42, v25
	s_delay_alu instid0(VALU_DEP_4) | instskip(SKIP_1) | instid1(VALU_DEP_4)
	v_add_f32_e32 v5, v8, v12
	v_sub_f32_e32 v40, v12, v8
	v_fma_f32 v9, v57, v31, -v9
	s_delay_alu instid0(VALU_DEP_4) | instskip(NEXT) | instid1(VALU_DEP_4)
	v_fmamk_f32 v57, v41, 0x3f737871, v42
	v_fma_f32 v26, -0.5, v5, v4
	s_delay_alu instid0(VALU_DEP_3) | instskip(SKIP_1) | instid1(VALU_DEP_2)
	v_dual_sub_f32 v5, v33, v2 :: v_dual_sub_f32 v52, v8, v9
	v_dual_add_f32 v43, v9, v0 :: v_dual_fmac_f32 v42, 0xbf737871, v41
	v_fmamk_f32 v34, v5, 0xbf737871, v26
	v_sub_f32_e32 v1, v33, v37
	v_sub_f32_e32 v35, v37, v14
	v_add_f32_e32 v13, v14, v37
	v_dual_sub_f32 v27, v0, v9 :: v_dual_sub_f32 v38, v2, v14
	v_sub_f32_e32 v50, v37, v33
	s_delay_alu instid0(VALU_DEP_4) | instskip(NEXT) | instid1(VALU_DEP_4)
	v_dual_fmac_f32 v34, 0xbf167918, v35 :: v_dual_sub_f32 v31, v9, v8
	v_fma_f32 v13, -0.5, v13, v36
	v_dual_sub_f32 v54, v14, v2 :: v_dual_sub_f32 v49, v45, v29
	v_fma_f32 v43, -0.5, v43, v4
	s_delay_alu instid0(VALU_DEP_4) | instskip(SKIP_1) | instid1(VALU_DEP_4)
	v_add_f32_e32 v30, v31, v30
	v_fmamk_f32 v31, v3, 0xbf737871, v28
	v_dual_fmamk_f32 v39, v27, 0x3f737871, v13 :: v_dual_add_f32 v50, v54, v50
	v_dual_add_f32 v47, v2, v33 :: v_dual_add_f32 v46, v49, v46
	s_delay_alu instid0(VALU_DEP_4) | instskip(NEXT) | instid1(VALU_DEP_4)
	v_fmac_f32_e32 v34, 0x3e9e377a, v30
	v_fmac_f32_e32 v31, 0xbf167918, v41
	v_dual_fmamk_f32 v53, v35, 0x3f737871, v43 :: v_dual_fmac_f32 v28, 0x3f737871, v3
	s_delay_alu instid0(VALU_DEP_4) | instskip(NEXT) | instid1(VALU_DEP_4)
	v_fma_f32 v47, -0.5, v47, v36
	v_mul_f32_e32 v10, 0xbf4f1bbd, v34
	v_dual_add_f32 v38, v38, v1 :: v_dual_sub_f32 v51, v12, v0
	v_fmac_f32_e32 v26, 0x3f737871, v5
	s_delay_alu instid0(VALU_DEP_4)
	v_fmamk_f32 v55, v40, 0xbf737871, v47
	v_fmac_f32_e32 v28, 0x3f167918, v41
	v_add_f32_e32 v0, v0, v4
	v_fmac_f32_e32 v39, 0x3f167918, v40
	v_fmac_f32_e32 v31, 0x3e9e377a, v6
	;; [unrolled: 1-line block ×4, first 2 shown]
	v_dual_add_f32 v6, v7, v25 :: v_dual_fmac_f32 v55, 0x3f167918, v27
	v_sub_f32_e32 v4, v7, v29
	v_dual_add_f32 v0, v12, v0 :: v_dual_fmac_f32 v57, 0xbf167918, v3
	v_add_f32_e32 v51, v52, v51
	s_delay_alu instid0(VALU_DEP_4)
	v_dual_fmac_f32 v55, 0x3e9e377a, v50 :: v_dual_sub_f32 v12, v11, v15
	v_dual_fmac_f32 v43, 0x3f167918, v5 :: v_dual_fmac_f32 v42, 0x3f167918, v3
	v_sub_f32_e32 v7, v48, v32
	v_fmac_f32_e32 v47, 0x3f737871, v40
	v_dual_add_f32 v0, v8, v0 :: v_dual_fmac_f32 v57, 0x3e9e377a, v46
	v_fmac_f32_e32 v26, 0x3f167918, v35
	v_fmac_f32_e32 v43, 0x3e9e377a, v51
	v_add_f32_e32 v12, v12, v7
	v_fmac_f32_e32 v47, 0xbf167918, v27
	v_dual_fmac_f32 v53, 0xbf167918, v5 :: v_dual_add_f32 v6, v44, v6
	v_fmac_f32_e32 v26, 0x3e9e377a, v30
	v_fmac_f32_e32 v39, 0x3e9e377a, v38
	s_delay_alu instid0(VALU_DEP_4) | instskip(SKIP_2) | instid1(VALU_DEP_4)
	v_dual_fmac_f32 v47, 0x3e9e377a, v50 :: v_dual_mul_f32 v50, 0x3e9e377a, v43
	v_add_f32_e32 v30, v15, v32
	v_fmac_f32_e32 v42, 0x3e9e377a, v46
	v_fmac_f32_e32 v10, 0x3f167918, v39
	v_dual_fmac_f32 v53, 0x3e9e377a, v51 :: v_dual_add_f32 v6, v45, v6
	v_sub_f32_e32 v25, v44, v45
	v_fmac_f32_e32 v13, 0xbf737871, v27
	s_delay_alu instid0(VALU_DEP_4) | instskip(NEXT) | instid1(VALU_DEP_4)
	v_sub_f32_e32 v1, v31, v10
	v_dual_mul_f32 v49, 0xbe9e377a, v53 :: v_dual_add_f32 v8, v11, v48
	s_delay_alu instid0(VALU_DEP_3) | instskip(SKIP_3) | instid1(VALU_DEP_4)
	v_dual_mul_f32 v34, 0xbf167918, v34 :: v_dual_fmac_f32 v13, 0xbf167918, v40
	v_fma_f32 v30, -0.5, v30, v24
	v_add_f32_e32 v6, v29, v6
	v_add_f32_e32 v29, v9, v0
	v_dual_sub_f32 v0, v32, v48 :: v_dual_fmac_f32 v13, 0x3e9e377a, v38
	v_fma_f32 v38, -0.5, v8, v24
	v_dual_add_f32 v24, v48, v24 :: v_dual_mul_f32 v27, 0x3f4f1bbd, v26
	v_sub_f32_e32 v8, v15, v11
	v_fmac_f32_e32 v50, 0x3f737871, v47
	v_fmac_f32_e32 v34, 0xbf4f1bbd, v39
	v_fmamk_f32 v40, v25, 0xbf737871, v38
	v_dual_fmac_f32 v38, 0x3f737871, v25 :: v_dual_add_f32 v33, v33, v36
	v_dual_fmac_f32 v49, 0x3f737871, v55 :: v_dual_add_f32 v8, v8, v0
	v_fmamk_f32 v35, v4, 0x3f737871, v30
	s_delay_alu instid0(VALU_DEP_4) | instskip(NEXT) | instid1(VALU_DEP_4)
	v_fmac_f32_e32 v40, 0x3f167918, v4
	v_fmac_f32_e32 v38, 0xbf167918, v4
	v_dual_add_f32 v24, v32, v24 :: v_dual_fmac_f32 v27, 0x3f167918, v13
	v_add_f32_e32 v32, v37, v33
	s_delay_alu instid0(VALU_DEP_4)
	v_dual_sub_f32 v9, v6, v29 :: v_dual_fmac_f32 v40, 0x3e9e377a, v8
	v_dual_mul_f32 v36, 0xbf737871, v53 :: v_dual_mul_f32 v33, 0xbf737871, v43
	v_fmac_f32_e32 v30, 0xbf737871, v4
	v_fmac_f32_e32 v38, 0x3e9e377a, v8
	v_add_f32_e32 v8, v14, v32
	v_mul_f32_e32 v32, 0xbf167918, v26
	v_dual_fmac_f32 v35, 0x3f167918, v25 :: v_dual_add_f32 v4, v15, v24
	v_fmac_f32_e32 v33, 0x3e9e377a, v47
	s_delay_alu instid0(VALU_DEP_3)
	v_dual_add_f32 v15, v42, v50 :: v_dual_fmac_f32 v32, 0x3f4f1bbd, v13
	v_add_f32_e32 v13, v57, v49
	v_fmac_f32_e32 v30, 0xbf167918, v25
	v_fmac_f32_e32 v35, 0x3e9e377a, v12
	v_add_f32_e32 v14, v11, v4
	v_dual_sub_f32 v4, v38, v33 :: v_dual_add_f32 v11, v31, v10
	s_delay_alu instid0(VALU_DEP_4) | instskip(SKIP_4) | instid1(VALU_DEP_4)
	v_fmac_f32_e32 v30, 0x3e9e377a, v12
	v_mul_u32_u24_e32 v12, 0xa0, v64
	v_dual_add_f32 v25, v28, v27 :: v_dual_add_f32 v2, v2, v8
	v_fmac_f32_e32 v36, 0xbe9e377a, v55
	v_dual_sub_f32 v7, v28, v27 :: v_dual_sub_f32 v0, v35, v34
	v_or_b32_e32 v10, v12, v63
	v_add_f32_e32 v27, v6, v29
	v_add_f32_e32 v24, v30, v32
	;; [unrolled: 1-line block ×3, first 2 shown]
	v_sub_f32_e32 v8, v14, v2
	v_lshlrev_b32_e32 v28, 3, v10
	v_add_f32_e32 v12, v40, v36
	v_add_f32_e32 v14, v38, v33
	;; [unrolled: 1-line block ×3, first 2 shown]
	v_sub_f32_e32 v5, v42, v50
	v_dual_sub_f32 v6, v30, v32 :: v_dual_sub_f32 v3, v57, v49
	v_sub_f32_e32 v2, v40, v36
	ds_store_2addr_b64 v28, v[26:27], v[24:25] offset1:16
	ds_store_2addr_b64 v28, v[14:15], v[12:13] offset0:32 offset1:48
	ds_store_2addr_b64 v28, v[10:11], v[8:9] offset0:64 offset1:80
	;; [unrolled: 1-line block ×4, first 2 shown]
.LBB0_21:
	s_wait_alu 0xfffe
	s_or_b32 exec_lo, exec_lo, s1
	global_wb scope:SCOPE_SE
	s_wait_dscnt 0x0
	s_barrier_signal -1
	s_barrier_wait -1
	global_inv scope:SCOPE_SE
	ds_load_2addr_b64 v[2:5], v61 offset1:160
	s_wait_dscnt 0x0
	v_dual_mul_f32 v15, v21, v4 :: v_dual_add_nc_u32 v0, 0x1400, v61
	v_mul_f32_e32 v14, v21, v5
	s_delay_alu instid0(VALU_DEP_1)
	v_dual_fmac_f32 v14, v20, v4 :: v_dual_add_nc_u32 v1, 0x800, v61
	ds_load_2addr_b64 v[6:9], v1 offset0:64 offset1:224
	ds_load_2addr_b64 v[10:13], v0 offset1:160
	v_fma_f32 v4, v20, v5, -v15
	s_wait_dscnt 0x1
	v_mul_f32_e32 v5, v23, v7
	v_dual_mul_f32 v15, v23, v6 :: v_dual_mul_f32 v20, v17, v9
	s_wait_dscnt 0x0
	v_dual_mul_f32 v21, v19, v11 :: v_dual_mul_f32 v24, v60, v12
	s_delay_alu instid0(VALU_DEP_3)
	v_fmac_f32_e32 v5, v22, v6
	v_mul_f32_e32 v17, v17, v8
	v_dual_mul_f32 v19, v19, v10 :: v_dual_fmac_f32 v20, v16, v8
	v_fma_f32 v6, v22, v7, -v15
	v_fmac_f32_e32 v21, v18, v10
	v_add_f32_e32 v10, v2, v5
	v_fma_f32 v7, v16, v9, -v17
	v_fma_f32 v9, v59, v13, -v24
	;; [unrolled: 1-line block ×3, first 2 shown]
	v_mul_f32_e32 v23, v60, v13
	s_delay_alu instid0(VALU_DEP_3) | instskip(NEXT) | instid1(VALU_DEP_1)
	v_dual_add_f32 v16, v4, v7 :: v_dual_add_f32 v17, v7, v9
	v_dual_fmac_f32 v4, -0.5, v17 :: v_dual_fmac_f32 v23, v59, v12
	v_add_f32_e32 v10, v10, v21
	v_dual_add_f32 v11, v5, v21 :: v_dual_sub_f32 v12, v6, v8
	v_dual_add_f32 v13, v3, v6 :: v_dual_add_f32 v6, v6, v8
	s_delay_alu instid0(VALU_DEP_4) | instskip(NEXT) | instid1(VALU_DEP_3)
	v_add_f32_e32 v15, v20, v23
	v_fma_f32 v11, -0.5, v11, v2
	v_sub_f32_e32 v2, v20, v23
	s_delay_alu instid0(VALU_DEP_4)
	v_fma_f32 v18, -0.5, v6, v3
	v_sub_f32_e32 v6, v7, v9
	v_sub_f32_e32 v5, v5, v21
	v_dual_add_f32 v3, v14, v20 :: v_dual_fmac_f32 v14, -0.5, v15
	v_add_f32_e32 v13, v13, v8
	v_fmamk_f32 v17, v12, 0xbf5db3d7, v11
	s_delay_alu instid0(VALU_DEP_4) | instskip(SKIP_4) | instid1(VALU_DEP_2)
	v_fmamk_f32 v19, v5, 0x3f5db3d7, v18
	v_fmac_f32_e32 v18, 0xbf5db3d7, v5
	v_fmamk_f32 v5, v2, 0x3f5db3d7, v4
	v_fmac_f32_e32 v4, 0xbf5db3d7, v2
	v_fmac_f32_e32 v11, 0x3f5db3d7, v12
	v_mul_f32_e32 v20, -0.5, v4
	s_delay_alu instid0(VALU_DEP_4) | instskip(SKIP_3) | instid1(VALU_DEP_3)
	v_mul_f32_e32 v12, 0xbf5db3d7, v5
	v_dual_add_f32 v8, v3, v23 :: v_dual_fmamk_f32 v3, v6, 0xbf5db3d7, v14
	v_fmac_f32_e32 v14, 0x3f5db3d7, v6
	v_mul_f32_e32 v15, 0xbf5db3d7, v4
	v_dual_add_f32 v9, v16, v9 :: v_dual_add_f32 v2, v10, v8
	v_mul_f32_e32 v16, 0.5, v5
	v_fmac_f32_e32 v12, 0.5, v3
	v_fmac_f32_e32 v20, 0x3f5db3d7, v14
	v_sub_f32_e32 v8, v10, v8
	s_delay_alu instid0(VALU_DEP_3) | instskip(SKIP_1) | instid1(VALU_DEP_4)
	v_dual_add_f32 v4, v17, v12 :: v_dual_fmac_f32 v15, -0.5, v14
	v_dual_fmac_f32 v16, 0x3f5db3d7, v3 :: v_dual_add_f32 v3, v13, v9
	v_add_f32_e32 v7, v18, v20
	s_delay_alu instid0(VALU_DEP_3) | instskip(NEXT) | instid1(VALU_DEP_3)
	v_dual_sub_f32 v9, v13, v9 :: v_dual_add_f32 v6, v11, v15
	v_add_f32_e32 v5, v19, v16
	v_sub_f32_e32 v10, v17, v12
	v_dual_sub_f32 v12, v11, v15 :: v_dual_sub_f32 v13, v18, v20
	v_sub_f32_e32 v11, v19, v16
	ds_store_2addr_b64 v61, v[2:3], v[4:5] offset1:160
	ds_store_2addr_b64 v1, v[6:7], v[8:9] offset0:64 offset1:224
	ds_store_2addr_b64 v0, v[10:11], v[12:13] offset1:160
	global_wb scope:SCOPE_SE
	s_wait_dscnt 0x0
	s_barrier_signal -1
	s_barrier_wait -1
	global_inv scope:SCOPE_SE
	s_and_b32 exec_lo, exec_lo, vcc_lo
	s_cbranch_execz .LBB0_23
; %bb.22:
	s_clause 0xb
	global_load_b64 v[22:23], v61, s[8:9]
	global_load_b64 v[24:25], v61, s[8:9] offset:480
	global_load_b64 v[26:27], v61, s[8:9] offset:960
	;; [unrolled: 1-line block ×11, first 2 shown]
	v_mad_co_u64_u32 v[14:15], null, s6, v56, 0
	v_mad_co_u64_u32 v[46:47], null, s4, v62, 0
	s_mov_b32 s2, 0x11111111
	s_mov_b32 s3, 0x3f511111
	s_mul_u64 s[0:1], s[4:5], 0x1e0
	s_delay_alu instid0(VALU_DEP_2) | instskip(NEXT) | instid1(VALU_DEP_2)
	v_mov_b32_e32 v2, v15
	v_mov_b32_e32 v6, v47
	s_delay_alu instid0(VALU_DEP_2)
	v_mad_co_u64_u32 v[10:11], null, s7, v56, v[2:3]
	ds_load_b64 v[48:49], v61
	ds_load_2addr_b64 v[2:5], v61 offset0:60 offset1:120
	v_mov_b32_e32 v15, v10
	ds_load_2addr_b64 v[10:13], v1 offset0:44 offset1:104
	v_add_nc_u32_e32 v1, 0xc00, v61
	v_mad_co_u64_u32 v[16:17], null, s5, v62, v[6:7]
	ds_load_2addr_b64 v[6:9], v61 offset0:180 offset1:240
	v_add_nc_u32_e32 v18, 0x1000, v61
	v_lshlrev_b64_e32 v[50:51], 3, v[14:15]
	v_mov_b32_e32 v47, v16
	ds_load_b64 v[52:53], v61 offset:3840
	ds_load_2addr_b64 v[14:17], v1 offset0:36 offset1:156
	ds_load_2addr_b64 v[18:21], v18 offset0:88 offset1:148
	v_add_co_u32 v54, vcc_lo, s12, v50
	v_add_co_ci_u32_e32 v55, vcc_lo, s13, v51, vcc_lo
	v_lshlrev_b64_e32 v[46:47], 3, v[46:47]
	s_wait_loadcnt_dscnt 0xa05
	v_dual_mul_f32 v1, v49, v23 :: v_dual_mul_f32 v50, v3, v25
	s_wait_loadcnt_dscnt 0x803
	v_dual_mul_f32 v23, v48, v23 :: v_dual_mul_f32 v56, v7, v29
	v_mul_f32_e32 v25, v2, v25
	s_wait_loadcnt 0x6
	v_dual_mul_f32 v51, v5, v27 :: v_dual_mul_f32 v58, v11, v33
	s_wait_loadcnt_dscnt 0x401
	v_dual_mul_f32 v27, v4, v27 :: v_dual_mul_f32 v60, v15, v37
	s_wait_loadcnt_dscnt 0x100
	v_dual_mul_f32 v29, v6, v29 :: v_dual_mul_f32 v64, v19, v43
	v_dual_mul_f32 v57, v9, v31 :: v_dual_fmac_f32 v50, v2, v24
	v_dual_mul_f32 v31, v8, v31 :: v_dual_fmac_f32 v56, v6, v28
	v_dual_mul_f32 v62, v53, v39 :: v_dual_mul_f32 v33, v10, v33
	v_fmac_f32_e32 v1, v48, v22
	v_fma_f32 v22, v22, v49, -v23
	v_dual_mul_f32 v59, v13, v35 :: v_dual_fmac_f32 v58, v10, v32
	v_dual_mul_f32 v35, v12, v35 :: v_dual_fmac_f32 v60, v14, v36
	v_fma_f32 v23, v24, v3, -v25
	v_mul_f32_e32 v37, v14, v37
	v_fmac_f32_e32 v51, v4, v26
	v_fma_f32 v24, v26, v5, -v27
	v_dual_mul_f32 v39, v52, v39 :: v_dual_fmac_f32 v64, v18, v42
	v_mul_f32_e32 v63, v17, v41
	v_fma_f32 v25, v28, v7, -v29
	v_mul_f32_e32 v41, v16, v41
	v_mul_f32_e32 v43, v18, v43
	s_wait_loadcnt 0x0
	v_mul_f32_e32 v65, v21, v45
	v_fmac_f32_e32 v57, v8, v30
	v_fma_f32 v26, v30, v9, -v31
	v_mul_f32_e32 v45, v20, v45
	v_fmac_f32_e32 v62, v52, v38
	v_fma_f32 v27, v32, v11, -v33
	v_cvt_f64_f32_e32 v[1:2], v1
	v_cvt_f64_f32_e32 v[3:4], v22
	v_fmac_f32_e32 v59, v12, v34
	v_fma_f32 v28, v34, v13, -v35
	v_cvt_f64_f32_e32 v[5:6], v50
	v_cvt_f64_f32_e32 v[7:8], v23
	v_fma_f32 v31, v36, v15, -v37
	v_cvt_f64_f32_e32 v[9:10], v51
	v_cvt_f64_f32_e32 v[11:12], v24
	v_fma_f32 v35, v38, v53, -v39
	v_fmac_f32_e32 v63, v16, v40
	v_cvt_f64_f32_e32 v[13:14], v56
	v_cvt_f64_f32_e32 v[15:16], v25
	v_fma_f32 v39, v40, v17, -v41
	v_fma_f32 v43, v42, v19, -v43
	v_fmac_f32_e32 v65, v20, v44
	v_cvt_f64_f32_e32 v[17:18], v57
	v_cvt_f64_f32_e32 v[19:20], v26
	v_fma_f32 v45, v44, v21, -v45
	v_cvt_f64_f32_e32 v[21:22], v58
	v_cvt_f64_f32_e32 v[23:24], v27
	;; [unrolled: 1-line block ×14, first 2 shown]
	v_add_co_u32 v45, vcc_lo, v54, v46
	s_wait_alu 0xfffd
	v_add_co_ci_u32_e32 v46, vcc_lo, v55, v47, vcc_lo
	s_wait_alu 0xfffe
	v_mul_f64_e32 v[1:2], s[2:3], v[1:2]
	v_mul_f64_e32 v[3:4], s[2:3], v[3:4]
	v_add_co_u32 v52, vcc_lo, v45, s0
	v_mul_f64_e32 v[5:6], s[2:3], v[5:6]
	v_mul_f64_e32 v[7:8], s[2:3], v[7:8]
	s_wait_alu 0xfffd
	v_add_co_ci_u32_e32 v53, vcc_lo, s1, v46, vcc_lo
	v_mul_f64_e32 v[9:10], s[2:3], v[9:10]
	v_mul_f64_e32 v[11:12], s[2:3], v[11:12]
	v_add_co_u32 v54, vcc_lo, v52, s0
	v_mul_f64_e32 v[13:14], s[2:3], v[13:14]
	v_mul_f64_e32 v[15:16], s[2:3], v[15:16]
	s_wait_alu 0xfffd
	v_add_co_ci_u32_e32 v55, vcc_lo, s1, v53, vcc_lo
	v_mul_f64_e32 v[17:18], s[2:3], v[17:18]
	v_mul_f64_e32 v[19:20], s[2:3], v[19:20]
	v_add_co_u32 v56, vcc_lo, v54, s0
	v_mul_f64_e32 v[21:22], s[2:3], v[21:22]
	v_mul_f64_e32 v[23:24], s[2:3], v[23:24]
	;; [unrolled: 1-line block ×14, first 2 shown]
	s_wait_alu 0xfffd
	v_add_co_ci_u32_e32 v57, vcc_lo, s1, v55, vcc_lo
	v_add_co_u32 v58, vcc_lo, v56, s0
	v_cvt_f32_f64_e32 v1, v[1:2]
	v_cvt_f32_f64_e32 v2, v[3:4]
	s_wait_alu 0xfffd
	v_add_co_ci_u32_e32 v59, vcc_lo, s1, v57, vcc_lo
	v_cvt_f32_f64_e32 v3, v[5:6]
	v_cvt_f32_f64_e32 v4, v[7:8]
	v_add_co_u32 v62, vcc_lo, v58, s0
	v_cvt_f32_f64_e32 v5, v[9:10]
	v_cvt_f32_f64_e32 v6, v[11:12]
	s_wait_alu 0xfffd
	v_add_co_ci_u32_e32 v63, vcc_lo, s1, v59, vcc_lo
	v_cvt_f32_f64_e32 v7, v[13:14]
	v_cvt_f32_f64_e32 v8, v[15:16]
	;; [unrolled: 1-line block ×18, first 2 shown]
	v_add_co_u32 v25, vcc_lo, v62, s0
	s_wait_alu 0xfffd
	v_add_co_ci_u32_e32 v26, vcc_lo, s1, v63, vcc_lo
	s_delay_alu instid0(VALU_DEP_2) | instskip(SKIP_1) | instid1(VALU_DEP_2)
	v_add_co_u32 v27, vcc_lo, v25, s0
	s_wait_alu 0xfffd
	v_add_co_ci_u32_e32 v28, vcc_lo, s1, v26, vcc_lo
	s_delay_alu instid0(VALU_DEP_2) | instskip(SKIP_1) | instid1(VALU_DEP_2)
	;; [unrolled: 4-line block ×5, first 2 shown]
	v_add_co_u32 v35, vcc_lo, v33, s0
	s_wait_alu 0xfffd
	v_add_co_ci_u32_e32 v36, vcc_lo, s1, v34, vcc_lo
	s_clause 0x4
	global_store_b64 v[45:46], v[1:2], off
	global_store_b64 v[52:53], v[3:4], off
	;; [unrolled: 1-line block ×12, first 2 shown]
	global_load_b64 v[4:5], v61, s[8:9] offset:5760
	ds_load_2addr_b64 v[0:3], v0 offset0:80 offset1:140
	s_wait_loadcnt_dscnt 0x0
	v_mul_f32_e32 v6, v1, v5
	v_mul_f32_e32 v5, v0, v5
	s_delay_alu instid0(VALU_DEP_2) | instskip(NEXT) | instid1(VALU_DEP_2)
	v_fmac_f32_e32 v6, v0, v4
	v_fma_f32 v4, v4, v1, -v5
	s_delay_alu instid0(VALU_DEP_2) | instskip(NEXT) | instid1(VALU_DEP_2)
	v_cvt_f64_f32_e32 v[0:1], v6
	v_cvt_f64_f32_e32 v[4:5], v4
	s_delay_alu instid0(VALU_DEP_2) | instskip(NEXT) | instid1(VALU_DEP_2)
	v_mul_f64_e32 v[0:1], s[2:3], v[0:1]
	v_mul_f64_e32 v[4:5], s[2:3], v[4:5]
	s_delay_alu instid0(VALU_DEP_2) | instskip(NEXT) | instid1(VALU_DEP_2)
	v_cvt_f32_f64_e32 v0, v[0:1]
	v_cvt_f32_f64_e32 v1, v[4:5]
	v_add_co_u32 v4, vcc_lo, v35, s0
	s_wait_alu 0xfffd
	v_add_co_ci_u32_e32 v5, vcc_lo, s1, v36, vcc_lo
	global_store_b64 v[4:5], v[0:1], off
	global_load_b64 v[0:1], v61, s[8:9] offset:6240
	v_add_co_u32 v4, vcc_lo, v4, s0
	s_wait_alu 0xfffd
	v_add_co_ci_u32_e32 v5, vcc_lo, s1, v5, vcc_lo
	s_wait_loadcnt 0x0
	v_mul_f32_e32 v6, v3, v1
	v_mul_f32_e32 v1, v2, v1
	s_delay_alu instid0(VALU_DEP_2) | instskip(NEXT) | instid1(VALU_DEP_2)
	v_fmac_f32_e32 v6, v2, v0
	v_fma_f32 v2, v0, v3, -v1
	s_delay_alu instid0(VALU_DEP_2) | instskip(NEXT) | instid1(VALU_DEP_2)
	v_cvt_f64_f32_e32 v[0:1], v6
	v_cvt_f64_f32_e32 v[2:3], v2
	s_delay_alu instid0(VALU_DEP_2) | instskip(NEXT) | instid1(VALU_DEP_2)
	v_mul_f64_e32 v[0:1], s[2:3], v[0:1]
	v_mul_f64_e32 v[2:3], s[2:3], v[2:3]
	s_delay_alu instid0(VALU_DEP_2) | instskip(NEXT) | instid1(VALU_DEP_2)
	v_cvt_f32_f64_e32 v0, v[0:1]
	v_cvt_f32_f64_e32 v1, v[2:3]
	global_store_b64 v[4:5], v[0:1], off
	global_load_b64 v[6:7], v61, s[8:9] offset:6720
	v_add_nc_u32_e32 v0, 0x1800, v61
	v_add_co_u32 v4, vcc_lo, v4, s0
	s_wait_alu 0xfffd
	v_add_co_ci_u32_e32 v5, vcc_lo, s1, v5, vcc_lo
	ds_load_2addr_b64 v[0:3], v0 offset0:72 offset1:132
	s_wait_loadcnt_dscnt 0x0
	v_mul_f32_e32 v8, v1, v7
	v_mul_f32_e32 v7, v0, v7
	s_delay_alu instid0(VALU_DEP_2) | instskip(NEXT) | instid1(VALU_DEP_2)
	v_fmac_f32_e32 v8, v0, v6
	v_fma_f32 v6, v6, v1, -v7
	s_delay_alu instid0(VALU_DEP_2) | instskip(NEXT) | instid1(VALU_DEP_2)
	v_cvt_f64_f32_e32 v[0:1], v8
	v_cvt_f64_f32_e32 v[6:7], v6
	s_delay_alu instid0(VALU_DEP_2) | instskip(NEXT) | instid1(VALU_DEP_2)
	v_mul_f64_e32 v[0:1], s[2:3], v[0:1]
	v_mul_f64_e32 v[6:7], s[2:3], v[6:7]
	s_delay_alu instid0(VALU_DEP_2) | instskip(NEXT) | instid1(VALU_DEP_2)
	v_cvt_f32_f64_e32 v0, v[0:1]
	v_cvt_f32_f64_e32 v1, v[6:7]
	global_store_b64 v[4:5], v[0:1], off
	global_load_b64 v[0:1], v61, s[8:9] offset:7200
	s_wait_loadcnt 0x0
	v_mul_f32_e32 v6, v3, v1
	v_mul_f32_e32 v1, v2, v1
	s_delay_alu instid0(VALU_DEP_2) | instskip(NEXT) | instid1(VALU_DEP_2)
	v_fmac_f32_e32 v6, v2, v0
	v_fma_f32 v2, v0, v3, -v1
	s_delay_alu instid0(VALU_DEP_2) | instskip(NEXT) | instid1(VALU_DEP_2)
	v_cvt_f64_f32_e32 v[0:1], v6
	v_cvt_f64_f32_e32 v[2:3], v2
	s_delay_alu instid0(VALU_DEP_2) | instskip(NEXT) | instid1(VALU_DEP_2)
	v_mul_f64_e32 v[0:1], s[2:3], v[0:1]
	v_mul_f64_e32 v[2:3], s[2:3], v[2:3]
	s_delay_alu instid0(VALU_DEP_2) | instskip(NEXT) | instid1(VALU_DEP_2)
	v_cvt_f32_f64_e32 v0, v[0:1]
	v_cvt_f32_f64_e32 v1, v[2:3]
	v_add_co_u32 v2, vcc_lo, v4, s0
	s_wait_alu 0xfffd
	v_add_co_ci_u32_e32 v3, vcc_lo, s1, v5, vcc_lo
	global_store_b64 v[2:3], v[0:1], off
.LBB0_23:
	s_nop 0
	s_sendmsg sendmsg(MSG_DEALLOC_VGPRS)
	s_endpgm
	.section	.rodata,"a",@progbits
	.p2align	6, 0x0
	.amdhsa_kernel bluestein_single_fwd_len960_dim1_sp_op_CI_CI
		.amdhsa_group_segment_fixed_size 7680
		.amdhsa_private_segment_fixed_size 0
		.amdhsa_kernarg_size 104
		.amdhsa_user_sgpr_count 2
		.amdhsa_user_sgpr_dispatch_ptr 0
		.amdhsa_user_sgpr_queue_ptr 0
		.amdhsa_user_sgpr_kernarg_segment_ptr 1
		.amdhsa_user_sgpr_dispatch_id 0
		.amdhsa_user_sgpr_private_segment_size 0
		.amdhsa_wavefront_size32 1
		.amdhsa_uses_dynamic_stack 0
		.amdhsa_enable_private_segment 0
		.amdhsa_system_sgpr_workgroup_id_x 1
		.amdhsa_system_sgpr_workgroup_id_y 0
		.amdhsa_system_sgpr_workgroup_id_z 0
		.amdhsa_system_sgpr_workgroup_info 0
		.amdhsa_system_vgpr_workitem_id 0
		.amdhsa_next_free_vgpr 116
		.amdhsa_next_free_sgpr 14
		.amdhsa_reserve_vcc 1
		.amdhsa_float_round_mode_32 0
		.amdhsa_float_round_mode_16_64 0
		.amdhsa_float_denorm_mode_32 3
		.amdhsa_float_denorm_mode_16_64 3
		.amdhsa_fp16_overflow 0
		.amdhsa_workgroup_processor_mode 1
		.amdhsa_memory_ordered 1
		.amdhsa_forward_progress 0
		.amdhsa_round_robin_scheduling 0
		.amdhsa_exception_fp_ieee_invalid_op 0
		.amdhsa_exception_fp_denorm_src 0
		.amdhsa_exception_fp_ieee_div_zero 0
		.amdhsa_exception_fp_ieee_overflow 0
		.amdhsa_exception_fp_ieee_underflow 0
		.amdhsa_exception_fp_ieee_inexact 0
		.amdhsa_exception_int_div_zero 0
	.end_amdhsa_kernel
	.text
.Lfunc_end0:
	.size	bluestein_single_fwd_len960_dim1_sp_op_CI_CI, .Lfunc_end0-bluestein_single_fwd_len960_dim1_sp_op_CI_CI
                                        ; -- End function
	.section	.AMDGPU.csdata,"",@progbits
; Kernel info:
; codeLenInByte = 10460
; NumSgprs: 16
; NumVgprs: 116
; ScratchSize: 0
; MemoryBound: 0
; FloatMode: 240
; IeeeMode: 1
; LDSByteSize: 7680 bytes/workgroup (compile time only)
; SGPRBlocks: 1
; VGPRBlocks: 14
; NumSGPRsForWavesPerEU: 16
; NumVGPRsForWavesPerEU: 116
; Occupancy: 12
; WaveLimiterHint : 1
; COMPUTE_PGM_RSRC2:SCRATCH_EN: 0
; COMPUTE_PGM_RSRC2:USER_SGPR: 2
; COMPUTE_PGM_RSRC2:TRAP_HANDLER: 0
; COMPUTE_PGM_RSRC2:TGID_X_EN: 1
; COMPUTE_PGM_RSRC2:TGID_Y_EN: 0
; COMPUTE_PGM_RSRC2:TGID_Z_EN: 0
; COMPUTE_PGM_RSRC2:TIDIG_COMP_CNT: 0
	.text
	.p2alignl 7, 3214868480
	.fill 96, 4, 3214868480
	.type	__hip_cuid_5a078c5cf93a422b,@object ; @__hip_cuid_5a078c5cf93a422b
	.section	.bss,"aw",@nobits
	.globl	__hip_cuid_5a078c5cf93a422b
__hip_cuid_5a078c5cf93a422b:
	.byte	0                               ; 0x0
	.size	__hip_cuid_5a078c5cf93a422b, 1

	.ident	"AMD clang version 19.0.0git (https://github.com/RadeonOpenCompute/llvm-project roc-6.4.0 25133 c7fe45cf4b819c5991fe208aaa96edf142730f1d)"
	.section	".note.GNU-stack","",@progbits
	.addrsig
	.addrsig_sym __hip_cuid_5a078c5cf93a422b
	.amdgpu_metadata
---
amdhsa.kernels:
  - .args:
      - .actual_access:  read_only
        .address_space:  global
        .offset:         0
        .size:           8
        .value_kind:     global_buffer
      - .actual_access:  read_only
        .address_space:  global
        .offset:         8
        .size:           8
        .value_kind:     global_buffer
      - .actual_access:  read_only
        .address_space:  global
        .offset:         16
        .size:           8
        .value_kind:     global_buffer
      - .actual_access:  read_only
        .address_space:  global
        .offset:         24
        .size:           8
        .value_kind:     global_buffer
      - .actual_access:  read_only
        .address_space:  global
        .offset:         32
        .size:           8
        .value_kind:     global_buffer
      - .offset:         40
        .size:           8
        .value_kind:     by_value
      - .address_space:  global
        .offset:         48
        .size:           8
        .value_kind:     global_buffer
      - .address_space:  global
        .offset:         56
        .size:           8
        .value_kind:     global_buffer
      - .address_space:  global
        .offset:         64
        .size:           8
        .value_kind:     global_buffer
      - .address_space:  global
        .offset:         72
        .size:           8
        .value_kind:     global_buffer
      - .offset:         80
        .size:           4
        .value_kind:     by_value
      - .address_space:  global
        .offset:         88
        .size:           8
        .value_kind:     global_buffer
      - .address_space:  global
        .offset:         96
        .size:           8
        .value_kind:     global_buffer
    .group_segment_fixed_size: 7680
    .kernarg_segment_align: 8
    .kernarg_segment_size: 104
    .language:       OpenCL C
    .language_version:
      - 2
      - 0
    .max_flat_workgroup_size: 160
    .name:           bluestein_single_fwd_len960_dim1_sp_op_CI_CI
    .private_segment_fixed_size: 0
    .sgpr_count:     16
    .sgpr_spill_count: 0
    .symbol:         bluestein_single_fwd_len960_dim1_sp_op_CI_CI.kd
    .uniform_work_group_size: 1
    .uses_dynamic_stack: false
    .vgpr_count:     116
    .vgpr_spill_count: 0
    .wavefront_size: 32
    .workgroup_processor_mode: 1
amdhsa.target:   amdgcn-amd-amdhsa--gfx1201
amdhsa.version:
  - 1
  - 2
...

	.end_amdgpu_metadata
